;; amdgpu-corpus repo=ROCm/rocFFT kind=compiled arch=gfx1030 opt=O3
	.text
	.amdgcn_target "amdgcn-amd-amdhsa--gfx1030"
	.amdhsa_code_object_version 6
	.protected	fft_rtc_back_len715_factors_13_5_11_wgs_195_tpt_65_halfLds_half_ip_CI_unitstride_sbrr_dirReg ; -- Begin function fft_rtc_back_len715_factors_13_5_11_wgs_195_tpt_65_halfLds_half_ip_CI_unitstride_sbrr_dirReg
	.globl	fft_rtc_back_len715_factors_13_5_11_wgs_195_tpt_65_halfLds_half_ip_CI_unitstride_sbrr_dirReg
	.p2align	8
	.type	fft_rtc_back_len715_factors_13_5_11_wgs_195_tpt_65_halfLds_half_ip_CI_unitstride_sbrr_dirReg,@function
fft_rtc_back_len715_factors_13_5_11_wgs_195_tpt_65_halfLds_half_ip_CI_unitstride_sbrr_dirReg: ; @fft_rtc_back_len715_factors_13_5_11_wgs_195_tpt_65_halfLds_half_ip_CI_unitstride_sbrr_dirReg
; %bb.0:
	s_load_dwordx4 s[8:11], s[4:5], 0x0
	v_mul_u32_u24_e32 v1, 0x3f1, v0
	s_clause 0x1
	s_load_dwordx2 s[2:3], s[4:5], 0x50
	s_load_dwordx2 s[12:13], s[4:5], 0x18
	v_mov_b32_e32 v6, 0
	v_mov_b32_e32 v4, 0
	;; [unrolled: 1-line block ×3, first 2 shown]
	v_lshrrev_b32_e32 v1, 16, v1
	v_mad_u64_u32 v[2:3], null, s6, 3, v[1:2]
	v_mov_b32_e32 v3, v6
	v_mov_b32_e32 v12, v3
	;; [unrolled: 1-line block ×3, first 2 shown]
	s_waitcnt lgkmcnt(0)
	v_cmp_lt_u64_e64 s0, s[10:11], 2
	s_and_b32 vcc_lo, exec_lo, s0
	s_cbranch_vccnz .LBB0_8
; %bb.1:
	s_load_dwordx2 s[0:1], s[4:5], 0x10
	v_mov_b32_e32 v4, 0
	v_mov_b32_e32 v9, v3
	s_add_u32 s6, s12, 8
	v_mov_b32_e32 v5, 0
	v_mov_b32_e32 v8, v2
	s_addc_u32 s7, s13, 0
	s_mov_b64 s[16:17], 1
	s_waitcnt lgkmcnt(0)
	s_add_u32 s14, s0, 8
	s_addc_u32 s15, s1, 0
.LBB0_2:                                ; =>This Inner Loop Header: Depth=1
	s_load_dwordx2 s[18:19], s[14:15], 0x0
                                        ; implicit-def: $vgpr11_vgpr12
	s_mov_b32 s0, exec_lo
	s_waitcnt lgkmcnt(0)
	v_or_b32_e32 v7, s19, v9
	v_cmpx_ne_u64_e32 0, v[6:7]
	s_xor_b32 s1, exec_lo, s0
	s_cbranch_execz .LBB0_4
; %bb.3:                                ;   in Loop: Header=BB0_2 Depth=1
	v_cvt_f32_u32_e32 v1, s18
	v_cvt_f32_u32_e32 v3, s19
	s_sub_u32 s0, 0, s18
	s_subb_u32 s20, 0, s19
	v_fmac_f32_e32 v1, 0x4f800000, v3
	v_rcp_f32_e32 v1, v1
	v_mul_f32_e32 v1, 0x5f7ffffc, v1
	v_mul_f32_e32 v3, 0x2f800000, v1
	v_trunc_f32_e32 v3, v3
	v_fmac_f32_e32 v1, 0xcf800000, v3
	v_cvt_u32_f32_e32 v3, v3
	v_cvt_u32_f32_e32 v1, v1
	v_mul_lo_u32 v7, s0, v3
	v_mul_hi_u32 v10, s0, v1
	v_mul_lo_u32 v11, s20, v1
	v_add_nc_u32_e32 v7, v10, v7
	v_mul_lo_u32 v10, s0, v1
	v_add_nc_u32_e32 v7, v7, v11
	v_mul_hi_u32 v11, v1, v10
	v_mul_lo_u32 v12, v1, v7
	v_mul_hi_u32 v13, v1, v7
	v_mul_hi_u32 v14, v3, v10
	v_mul_lo_u32 v10, v3, v10
	v_mul_hi_u32 v15, v3, v7
	v_mul_lo_u32 v7, v3, v7
	v_add_co_u32 v11, vcc_lo, v11, v12
	v_add_co_ci_u32_e32 v12, vcc_lo, 0, v13, vcc_lo
	v_add_co_u32 v10, vcc_lo, v11, v10
	v_add_co_ci_u32_e32 v10, vcc_lo, v12, v14, vcc_lo
	v_add_co_ci_u32_e32 v11, vcc_lo, 0, v15, vcc_lo
	v_add_co_u32 v7, vcc_lo, v10, v7
	v_add_co_ci_u32_e32 v10, vcc_lo, 0, v11, vcc_lo
	v_add_co_u32 v1, vcc_lo, v1, v7
	v_add_co_ci_u32_e32 v3, vcc_lo, v3, v10, vcc_lo
	v_mul_hi_u32 v7, s0, v1
	v_mul_lo_u32 v11, s20, v1
	v_mul_lo_u32 v10, s0, v3
	v_add_nc_u32_e32 v7, v7, v10
	v_mul_lo_u32 v10, s0, v1
	v_add_nc_u32_e32 v7, v7, v11
	v_mul_hi_u32 v11, v1, v10
	v_mul_lo_u32 v12, v1, v7
	v_mul_hi_u32 v13, v1, v7
	v_mul_hi_u32 v14, v3, v10
	v_mul_lo_u32 v10, v3, v10
	v_mul_hi_u32 v15, v3, v7
	v_mul_lo_u32 v7, v3, v7
	v_add_co_u32 v11, vcc_lo, v11, v12
	v_add_co_ci_u32_e32 v12, vcc_lo, 0, v13, vcc_lo
	v_add_co_u32 v10, vcc_lo, v11, v10
	v_add_co_ci_u32_e32 v10, vcc_lo, v12, v14, vcc_lo
	v_add_co_ci_u32_e32 v11, vcc_lo, 0, v15, vcc_lo
	v_add_co_u32 v7, vcc_lo, v10, v7
	v_add_co_ci_u32_e32 v10, vcc_lo, 0, v11, vcc_lo
	v_add_co_u32 v1, vcc_lo, v1, v7
	v_add_co_ci_u32_e32 v3, vcc_lo, v3, v10, vcc_lo
	v_mul_hi_u32 v7, v8, v1
	v_mad_u64_u32 v[12:13], null, v9, v1, 0
	v_mad_u64_u32 v[10:11], null, v8, v3, 0
	v_mad_u64_u32 v[14:15], null, v9, v3, 0
	v_add_co_u32 v1, vcc_lo, v7, v10
	v_add_co_ci_u32_e32 v3, vcc_lo, 0, v11, vcc_lo
	v_add_co_u32 v1, vcc_lo, v1, v12
	v_add_co_ci_u32_e32 v1, vcc_lo, v3, v13, vcc_lo
	v_add_co_ci_u32_e32 v3, vcc_lo, 0, v15, vcc_lo
	v_add_co_u32 v1, vcc_lo, v1, v14
	v_add_co_ci_u32_e32 v3, vcc_lo, 0, v3, vcc_lo
	v_mul_lo_u32 v7, s19, v1
	v_mad_u64_u32 v[10:11], null, s18, v1, 0
	v_mul_lo_u32 v12, s18, v3
	v_sub_co_u32 v10, vcc_lo, v8, v10
	v_add3_u32 v7, v11, v12, v7
	v_sub_nc_u32_e32 v11, v9, v7
	v_subrev_co_ci_u32_e64 v11, s0, s19, v11, vcc_lo
	v_add_co_u32 v12, s0, v1, 2
	v_add_co_ci_u32_e64 v13, s0, 0, v3, s0
	v_sub_co_u32 v14, s0, v10, s18
	v_sub_co_ci_u32_e32 v7, vcc_lo, v9, v7, vcc_lo
	v_subrev_co_ci_u32_e64 v11, s0, 0, v11, s0
	v_cmp_le_u32_e32 vcc_lo, s18, v14
	v_cmp_eq_u32_e64 s0, s19, v7
	v_cndmask_b32_e64 v14, 0, -1, vcc_lo
	v_cmp_le_u32_e32 vcc_lo, s19, v11
	v_cndmask_b32_e64 v15, 0, -1, vcc_lo
	v_cmp_le_u32_e32 vcc_lo, s18, v10
	;; [unrolled: 2-line block ×3, first 2 shown]
	v_cndmask_b32_e64 v16, 0, -1, vcc_lo
	v_cmp_eq_u32_e32 vcc_lo, s19, v11
	v_cndmask_b32_e64 v7, v16, v10, s0
	v_cndmask_b32_e32 v11, v15, v14, vcc_lo
	v_add_co_u32 v14, vcc_lo, v1, 1
	v_add_co_ci_u32_e32 v15, vcc_lo, 0, v3, vcc_lo
	v_cmp_ne_u32_e32 vcc_lo, 0, v11
	v_cndmask_b32_e32 v10, v15, v13, vcc_lo
	v_cndmask_b32_e32 v11, v14, v12, vcc_lo
	v_cmp_ne_u32_e32 vcc_lo, 0, v7
	v_cndmask_b32_e32 v12, v3, v10, vcc_lo
	v_cndmask_b32_e32 v11, v1, v11, vcc_lo
.LBB0_4:                                ;   in Loop: Header=BB0_2 Depth=1
	s_andn2_saveexec_b32 s0, s1
	s_cbranch_execz .LBB0_6
; %bb.5:                                ;   in Loop: Header=BB0_2 Depth=1
	v_cvt_f32_u32_e32 v1, s18
	s_sub_i32 s1, 0, s18
	v_mov_b32_e32 v12, v6
	v_rcp_iflag_f32_e32 v1, v1
	v_mul_f32_e32 v1, 0x4f7ffffe, v1
	v_cvt_u32_f32_e32 v1, v1
	v_mul_lo_u32 v3, s1, v1
	v_mul_hi_u32 v3, v1, v3
	v_add_nc_u32_e32 v1, v1, v3
	v_mul_hi_u32 v1, v8, v1
	v_mul_lo_u32 v3, v1, s18
	v_add_nc_u32_e32 v7, 1, v1
	v_sub_nc_u32_e32 v3, v8, v3
	v_subrev_nc_u32_e32 v10, s18, v3
	v_cmp_le_u32_e32 vcc_lo, s18, v3
	v_cndmask_b32_e32 v3, v3, v10, vcc_lo
	v_cndmask_b32_e32 v1, v1, v7, vcc_lo
	v_cmp_le_u32_e32 vcc_lo, s18, v3
	v_add_nc_u32_e32 v7, 1, v1
	v_cndmask_b32_e32 v11, v1, v7, vcc_lo
.LBB0_6:                                ;   in Loop: Header=BB0_2 Depth=1
	s_or_b32 exec_lo, exec_lo, s0
	s_load_dwordx2 s[0:1], s[6:7], 0x0
	v_mul_lo_u32 v1, v12, s18
	v_mul_lo_u32 v3, v11, s19
	v_mad_u64_u32 v[13:14], null, v11, s18, 0
	s_add_u32 s16, s16, 1
	s_addc_u32 s17, s17, 0
	s_add_u32 s6, s6, 8
	s_addc_u32 s7, s7, 0
	;; [unrolled: 2-line block ×3, first 2 shown]
	v_add3_u32 v1, v14, v3, v1
	v_sub_co_u32 v3, vcc_lo, v8, v13
	v_sub_co_ci_u32_e32 v1, vcc_lo, v9, v1, vcc_lo
	s_waitcnt lgkmcnt(0)
	v_mul_lo_u32 v7, s1, v3
	v_mul_lo_u32 v1, s0, v1
	v_mad_u64_u32 v[4:5], null, s0, v3, v[4:5]
	v_cmp_ge_u64_e64 s0, s[16:17], s[10:11]
	s_and_b32 vcc_lo, exec_lo, s0
	v_add3_u32 v5, v7, v5, v1
	s_cbranch_vccnz .LBB0_8
; %bb.7:                                ;   in Loop: Header=BB0_2 Depth=1
	v_mov_b32_e32 v8, v11
	v_mov_b32_e32 v9, v12
	s_branch .LBB0_2
.LBB0_8:
	s_lshl_b64 s[0:1], s[10:11], 3
	v_mul_hi_u32 v1, 0x3f03f04, v0
	s_add_u32 s0, s12, s0
	s_addc_u32 s1, s13, s1
	v_mov_b32_e32 v13, 0
	s_load_dwordx2 s[0:1], s[0:1], 0x0
	s_load_dwordx2 s[4:5], s[4:5], 0x20
	v_mov_b32_e32 v10, 0
	v_mov_b32_e32 v24, 0
                                        ; implicit-def: $vgpr23
                                        ; implicit-def: $vgpr30
                                        ; implicit-def: $vgpr22
                                        ; implicit-def: $vgpr29
                                        ; implicit-def: $vgpr21
                                        ; implicit-def: $vgpr28
                                        ; implicit-def: $vgpr20
                                        ; implicit-def: $vgpr27
                                        ; implicit-def: $vgpr19
                                        ; implicit-def: $vgpr25
                                        ; implicit-def: $vgpr18
                                        ; implicit-def: $vgpr36
                                        ; implicit-def: $vgpr7
                                        ; implicit-def: $vgpr34
                                        ; implicit-def: $vgpr33
                                        ; implicit-def: $vgpr31
                                        ; implicit-def: $vgpr16
                                        ; implicit-def: $vgpr26
                                        ; implicit-def: $vgpr17
	v_mul_u32_u24_e32 v1, 0x41, v1
	v_sub_nc_u32_e32 v0, v0, v1
                                        ; implicit-def: $vgpr1
	s_waitcnt lgkmcnt(0)
	v_mul_lo_u32 v3, s0, v12
	v_mul_lo_u32 v6, s1, v11
	v_mad_u64_u32 v[8:9], null, s0, v11, v[4:5]
	v_cmp_gt_u64_e32 vcc_lo, s[4:5], v[11:12]
                                        ; implicit-def: $vgpr11
                                        ; implicit-def: $vgpr12
	v_add3_u32 v9, v6, v9, v3
                                        ; implicit-def: $vgpr6
	s_and_saveexec_b32 s1, vcc_lo
	s_cbranch_execz .LBB0_12
; %bb.9:
	v_cmp_gt_u32_e64 s0, 55, v0
	v_mov_b32_e32 v24, 0
	v_mov_b32_e32 v13, 0
                                        ; implicit-def: $vgpr17
                                        ; implicit-def: $vgpr26
                                        ; implicit-def: $vgpr16
                                        ; implicit-def: $vgpr31
                                        ; implicit-def: $vgpr12
                                        ; implicit-def: $vgpr33
                                        ; implicit-def: $vgpr11
                                        ; implicit-def: $vgpr34
                                        ; implicit-def: $vgpr7
                                        ; implicit-def: $vgpr36
                                        ; implicit-def: $vgpr1
                                        ; implicit-def: $vgpr6
                                        ; implicit-def: $vgpr18
                                        ; implicit-def: $vgpr25
                                        ; implicit-def: $vgpr19
                                        ; implicit-def: $vgpr27
                                        ; implicit-def: $vgpr20
                                        ; implicit-def: $vgpr28
                                        ; implicit-def: $vgpr21
                                        ; implicit-def: $vgpr29
                                        ; implicit-def: $vgpr22
                                        ; implicit-def: $vgpr30
                                        ; implicit-def: $vgpr23
	s_and_saveexec_b32 s4, s0
	s_cbranch_execz .LBB0_11
; %bb.10:
	v_mov_b32_e32 v1, 0
	v_lshlrev_b64 v[3:4], 2, v[8:9]
	v_lshlrev_b64 v[5:6], 2, v[0:1]
	v_add_co_u32 v1, s0, s2, v3
	v_add_co_ci_u32_e64 v4, s0, s3, v4, s0
	v_add_co_u32 v3, s0, v1, v5
	v_add_co_ci_u32_e64 v4, s0, v4, v6, s0
	;; [unrolled: 2-line block ×3, first 2 shown]
	s_clause 0xc
	global_load_dword v5, v[3:4], off
	global_load_dword v30, v[3:4], off offset:220
	global_load_dword v29, v[3:4], off offset:440
	;; [unrolled: 1-line block ×12, first 2 shown]
	s_waitcnt vmcnt(12)
	v_lshrrev_b32_e32 v13, 16, v5
	s_waitcnt vmcnt(11)
	v_lshrrev_b32_e32 v23, 16, v30
	;; [unrolled: 2-line block ×13, first 2 shown]
	v_perm_b32 v24, v5, v14, 0x5040100
.LBB0_11:
	s_or_b32 exec_lo, exec_lo, s4
	v_mov_b32_e32 v10, v0
.LBB0_12:
	s_or_b32 exec_lo, exec_lo, s1
	v_sub_f16_e32 v37, v23, v1
	v_add_f16_e32 v46, v30, v36
	v_sub_f16_e32 v14, v22, v7
	v_add_f16_e32 v47, v29, v34
	v_sub_f16_e32 v15, v21, v11
	v_mul_f16_e32 v48, 0xbbf1, v37
	v_pk_mul_f16 v55, 0xb770ba95, v37 op_sel_hi:[1,0]
	v_mul_f16_e32 v52, 0xb3a8, v14
	v_add_f16_e32 v45, v28, v33
	v_sub_f16_e32 v32, v20, v12
	v_fma_f16 v4, v46, 0x2fb7, -v48
	v_mul_f16_e32 v44, 0x3b7b, v15
	v_fma_f16 v5, v47, 0xbbc4, -v52
	v_pk_mul_f16 v56, 0xba95bb7b, v14 op_sel_hi:[1,0]
	v_pk_fma_f16 v38, 0x3b15388b, v46, v55 op_sel_hi:[1,0,1] neg_lo:[0,0,1] neg_hi:[0,0,1]
	v_add_f16_sdwa v4, v24, v4 dst_sel:DWORD dst_unused:UNUSED_PAD src0_sel:WORD_1 src1_sel:DWORD
	v_mul_hi_u32 v3, 0xaaaaaaab, v2
	v_fma_f16 v35, v45, 0xb5ac, -v44
	v_add_f16_e32 v50, v27, v31
	v_mul_f16_e32 v49, 0x3770, v32
	v_add_f16_e32 v4, v4, v5
	v_pk_add_f16 v5, v24, v38 op_sel:[1,0]
	v_pk_fma_f16 v38, 0x388bb5ac, v47, v56 op_sel_hi:[1,0,1] neg_lo:[0,0,1] neg_hi:[0,0,1]
	v_pk_mul_f16 v54, 0xbbf1b3a8, v15 op_sel_hi:[1,0]
	v_lshrrev_b32_e32 v3, 1, v3
	v_add_f16_e32 v4, v4, v35
	v_fma_f16 v35, v50, 0x3b15, -v49
	v_sub_f16_e32 v40, v19, v16
	v_pk_add_f16 v5, v5, v38
	v_pk_fma_f16 v38, 0x2fb7bbc4, v45, v54 op_sel_hi:[1,0,1] neg_lo:[0,0,1] neg_hi:[0,0,1]
	v_pk_mul_f16 v53, 0xbb7b394e, v32 op_sel_hi:[1,0]
	v_lshl_add_u32 v3, v3, 1, v3
	v_add_f16_e32 v4, v4, v35
	v_add_f16_e32 v51, v25, v26
	v_mul_f16_e32 v39, 0xba95, v40
	v_pk_add_f16 v5, v5, v38
	v_pk_fma_f16 v35, 0xb5acb9fd, v50, v53 op_sel_hi:[1,0,1] neg_lo:[0,0,1] neg_hi:[0,0,1]
	v_pk_mul_f16 v41, 0xb94e3bf1, v40 op_sel_hi:[1,0]
	v_sub_f16_e32 v42, v18, v17
	v_fma_f16 v57, v51, 0x388b, -v39
	v_add_f16_e32 v43, v6, v24
	v_pk_add_f16 v5, v5, v35
	v_pk_fma_f16 v58, 0xb9fd2fb7, v51, v41 op_sel_hi:[1,0,1] neg_lo:[0,0,1] neg_hi:[0,0,1]
	v_pk_mul_f16 v35, 0xb3a83770, v42 op_sel_hi:[1,0]
	v_mul_f16_e32 v38, 0xb94e, v42
	v_sub_nc_u32_e32 v2, v2, v3
	v_add_f16_e32 v3, v4, v57
	v_pk_add_f16 v4, v5, v58
	v_pk_fma_f16 v5, 0xbbc43b15, v43, v35 op_sel_hi:[1,0,1] neg_lo:[0,0,1] neg_hi:[0,0,1]
	v_fma_f16 v57, v43, 0xb9fd, -v38
	v_mul_u32_u24_e32 v2, 0x2cb, v2
	v_cmp_gt_u32_e64 s1, 55, v0
	v_pk_add_f16 v5, v4, v5
	v_add_f16_e32 v4, v3, v57
	v_lshlrev_b32_e32 v3, 1, v2
	s_and_saveexec_b32 s0, s1
	s_cbranch_execz .LBB0_14
; %bb.13:
	v_mul_f16_e32 v2, 0xbbc4, v46
	v_mul_f16_e32 v60, 0x3b15, v47
	;; [unrolled: 1-line block ×4, first 2 shown]
	v_pack_b32_f16 v57, v46, v46
	v_fmamk_f16 v61, v37, 0xb3a8, v2
	v_fmamk_f16 v65, v14, 0x3770, v60
	;; [unrolled: 1-line block ×4, first 2 shown]
	v_pack_b32_f16 v58, v37, v37
	v_add_f16_sdwa v61, v24, v61 dst_sel:DWORD dst_unused:UNUSED_PAD src0_sel:WORD_1 src1_sel:DWORD
	v_pk_mul_f16 v81, 0x3b15388b, v46 op_sel_hi:[1,0]
	v_pack_b32_f16 v59, v47, v47
	v_pack_b32_f16 v62, v14, v14
	v_pk_mul_f16 v57, 0xb9fdb5ac, v57
	v_add_f16_e32 v61, v61, v65
	v_pk_mul_f16 v70, 0xb94ebb7b, v58
	v_bfi_b32 v82, 0xffff, v6, v81
	v_pk_mul_f16 v83, 0x388bb5ac, v47 op_sel_hi:[1,0]
	v_mul_f16_e32 v46, 0x2fb7, v46
	v_add_f16_e32 v61, v61, v69
	v_pack_b32_f16 v63, v45, v45
	v_pack_b32_f16 v66, v15, v15
	v_pk_mul_f16 v59, 0x2fb7b9fd, v59
	v_pk_mul_f16 v69, 0x3bf1394e, v62
	v_add_f16_e32 v61, v61, v71
	v_add_f16_sdwa v71, v24, v30 dst_sel:DWORD dst_unused:UNUSED_PAD src0_sel:WORD_1 src1_sel:DWORD
	v_sub_f16_e32 v73, v57, v70
	v_perm_b32 v48, v48, v55, 0x5040100
	v_mul_f16_e32 v47, 0xbbc4, v47
	v_perm_b32 v46, v46, v81, 0x5040100
	v_add_f16_e32 v71, v71, v29
	v_pk_mul_f16 v63, 0x388b3b15, v63
	v_sub_f16_e32 v74, v59, v69
	v_add_f16_sdwa v73, v24, v73 dst_sel:DWORD dst_unused:UNUSED_PAD src0_sel:WORD_1 src1_sel:DWORD
	v_pk_mul_f16 v75, 0xba953770, v66
	v_add_f16_e32 v71, v71, v28
	v_pack_b32_f16 v76, v50, v50
	v_pack_b32_f16 v77, v32, v32
	v_pk_mul_f16 v88, 0x2fb7bbc4, v45 op_sel_hi:[1,0]
	v_perm_b32 v52, v52, v56, 0x5040100
	v_add_f16_e32 v71, v71, v27
	v_perm_b32 v47, v47, v83, 0x5040100
	v_pk_add_f16 v46, v48, v46
	v_perm_b32 v48, v24, v24, 0x7060302
	v_mul_f16_e32 v45, 0xb5ac, v45
	v_add_f16_e32 v71, v71, v25
	v_add_f16_e32 v73, v73, v74
	v_sub_f16_e32 v74, v63, v75
	v_pk_mul_f16 v76, 0xbbc42fb7, v76
	v_pk_mul_f16 v78, 0x33a8bbf1, v77
	v_bfi_b32 v71, 0xffff, v71, v55
	v_pk_add_f16 v47, v52, v47
	v_perm_b32 v44, v44, v54, 0x5040100
	v_pk_add_f16 v46, v48, v46
	v_perm_b32 v45, v45, v88, 0x5040100
	v_pk_add_f16 v71, v71, v82
	v_pk_add_f16 v82, v56, v83
	v_pk_mul_f16 v56, 0xb9fd2fb7, v51 op_sel_hi:[1,0]
	v_mul_f16_e32 v37, 0xb3a8, v37
	v_mul_f16_e32 v68, 0xb5ac, v51
	v_pk_add_f16 v71, v71, v24
	v_bfi_b32 v82, 0xffff, v26, v82
	v_add_f16_e32 v73, v73, v74
	v_sub_f16_e32 v74, v76, v78
	v_pack_b32_f16 v79, v51, v51
	v_pack_b32_f16 v80, v40, v40
	v_pk_add_f16 v71, v82, v71
	v_pk_mul_f16 v82, 0xb5acb9fd, v50 op_sel_hi:[1,0]
	v_mul_f16_e32 v50, 0x3b15, v50
	v_pk_add_f16 v52, v41, v56
	v_pk_add_f16 v46, v46, v47
	;; [unrolled: 1-line block ×3, first 2 shown]
	v_perm_b32 v47, v49, v53, 0x5040100
	v_perm_b32 v49, v50, v82, 0x5040100
	v_bfi_b32 v37, 0xffff, v37, v70
	v_bfi_b32 v2, 0xffff, v2, v57
	v_mul_f16_e32 v14, 0x3770, v14
	v_mul_f16_e32 v65, 0x2fb7, v43
	v_fmamk_f16 v72, v40, 0xbb7b, v68
	v_add_f16_e32 v73, v73, v74
	v_pk_mul_f16 v74, 0x3b15bbc4, v79
	v_pk_mul_f16 v79, 0x377033a8, v80
	v_bfi_b32 v45, 0xffff, v34, v52
	v_pk_add_f16 v44, v46, v44
	v_pk_add_f16 v46, v47, v49
	v_mul_f16_e32 v15, 0xb94e, v15
	v_pk_add_f16 v2, v2, v37 neg_lo:[0,1] neg_hi:[0,1]
	v_bfi_b32 v14, 0xffff, v14, v69
	v_bfi_b32 v52, 0xffff, v60, v59
	v_add_f16_e32 v61, v61, v72
	v_fmamk_f16 v72, v42, 0x3bf1, v65
	v_sub_f16_e32 v86, v74, v79
	v_perm_b32 v39, v39, v41, 0x5040100
	v_pk_fma_f16 v41, 0xb94ebb7b, v58, v57
	v_mul_f16_e32 v32, 0x3a95, v32
	v_pk_add_f16 v44, v44, v46
	v_pk_add_f16 v2, v48, v2
	v_pk_add_f16 v14, v52, v14 neg_lo:[0,1] neg_hi:[0,1]
	v_bfi_b32 v46, 0xffff, v64, v63
	v_bfi_b32 v15, 0xffff, v15, v75
	v_add_f16_e32 v61, v61, v72
	v_add_f16_e32 v72, v73, v86
	v_pk_add_f16 v73, v54, v88
	v_pk_add_f16 v41, v48, v41
	v_pk_fma_f16 v48, 0x3bf1394e, v62, v59
	v_pack_b32_f16 v84, v43, v43
	v_pack_b32_f16 v85, v42, v42
	v_mul_f16_e32 v40, 0xbb7b, v40
	v_pk_add_f16 v2, v2, v14
	v_pk_add_f16 v14, v46, v15 neg_lo:[0,1] neg_hi:[0,1]
	v_bfi_b32 v15, 0xffff, v67, v76
	v_bfi_b32 v32, 0xffff, v32, v78
	;; [unrolled: 1-line block ×3, first 2 shown]
	v_pk_add_f16 v55, v53, v82
	v_mul_f16_e32 v47, 0x388b, v51
	v_pk_mul_f16 v49, 0xbbc43b15, v43 op_sel_hi:[1,0]
	v_pk_add_f16 v41, v41, v48
	v_pk_fma_f16 v46, 0xba953770, v66, v63
	v_pk_mul_f16 v84, 0xb5ac388b, v84
	v_pk_mul_f16 v87, 0xbb7b3a95, v85
	v_mul_f16_e32 v42, 0x3bf1, v42
	v_pk_add_f16 v2, v2, v14
	v_pk_add_f16 v14, v15, v32 neg_lo:[0,1] neg_hi:[0,1]
	v_bfi_b32 v15, 0xffff, v68, v74
	v_bfi_b32 v32, 0xffff, v40, v79
	v_pk_add_f16 v71, v73, v71
	v_bfi_b32 v55, 0xffff, v33, v55
	v_mul_f16_e32 v43, 0xb9fd, v43
	v_pk_add_f16 v37, v35, v49
	v_perm_b32 v47, v47, v56, 0x5040100
	v_perm_b32 v35, v38, v35, 0x5040100
	v_pk_add_f16 v38, v41, v46
	v_pk_fma_f16 v40, 0x33a8bbf1, v77, v76
	v_pk_add_f16 v2, v2, v14
	v_pk_add_f16 v14, v15, v32 neg_lo:[0,1] neg_hi:[0,1]
	v_bfi_b32 v15, 0xffff, v65, v84
	v_bfi_b32 v32, 0xffff, v42, v87
	v_pk_add_f16 v54, v55, v71
	v_pk_add_f16 v39, v39, v47
	v_perm_b32 v41, v43, v49, 0x5040100
	v_pk_add_f16 v38, v38, v40
	v_pk_fma_f16 v40, 0x377033a8, v80, v74
	v_sub_f16_e32 v86, v84, v87
	v_pk_add_f16 v2, v2, v14
	v_pk_add_f16 v14, v15, v32 neg_lo:[0,1] neg_hi:[0,1]
	v_pk_add_f16 v45, v45, v54
	v_mul_u32_u24_e32 v51, 26, v0
	v_bfi_b32 v37, 0xffff, v36, v37
	v_pk_add_f16 v15, v44, v39
	v_pk_add_f16 v32, v35, v41
	;; [unrolled: 1-line block ×3, first 2 shown]
	v_pk_fma_f16 v39, 0xbb7b3a95, v85, v84
	v_add_f16_e32 v50, v72, v86
	v_pk_add_f16 v2, v2, v14
	v_add3_u32 v40, 0, v51, v3
	v_pk_add_f16 v37, v37, v45
	v_pk_add_f16 v38, v15, v32
	;; [unrolled: 1-line block ×3, first 2 shown]
	v_alignbit_b32 v15, v50, v2, 16
	v_pack_b32_f16 v14, v61, v2
	ds_write_b96 v40, v[37:39]
	ds_write_b64 v40, v[14:15] offset:12
	ds_write_b16 v40, v4 offset:20
	ds_write_b32 v40, v5 offset:22
.LBB0_14:
	s_or_b32 exec_lo, exec_lo, s0
	v_lshlrev_b32_e32 v2, 1, v0
	s_waitcnt lgkmcnt(0)
	s_barrier
	buffer_gl0_inv
	v_cmp_gt_u32_e64 s0, 13, v0
	v_add_nc_u32_e32 v47, 0, v2
	v_add3_u32 v15, 0, v3, v2
                                        ; implicit-def: $vgpr41
                                        ; implicit-def: $vgpr42
	v_add_nc_u32_e32 v14, v47, v3
	ds_read_u16 v32, v15
	ds_read_u16 v37, v14 offset:988
	ds_read_u16 v43, v14 offset:858
	ds_read_u16 v38, v14 offset:702
	ds_read_u16 v44, v14 offset:572
	ds_read_u16 v40, v14 offset:416
	ds_read_u16 v46, v14 offset:286
	ds_read_u16 v35, v14 offset:130
	ds_read_u16 v45, v14 offset:1144
	ds_read_u16 v39, v14 offset:1274
	s_and_saveexec_b32 s4, s0
	s_cbranch_execz .LBB0_16
; %bb.15:
	ds_read_u16 v5, v14 offset:546
	ds_read_u16 v4, v14 offset:260
	;; [unrolled: 1-line block ×3, first 2 shown]
	s_waitcnt lgkmcnt(2)
	ds_read_u16_d16_hi v5, v14 offset:832
	ds_read_u16 v41, v14 offset:1404
.LBB0_16:
	s_or_b32 exec_lo, exec_lo, s4
	v_sub_f16_e32 v55, v30, v36
	v_add_f16_e32 v48, v23, v1
	v_sub_f16_e32 v52, v29, v34
	v_sub_f16_e32 v49, v27, v31
	v_add_f16_e32 v30, v22, v7
	v_pk_mul_f16 v29, 0xb770ba95, v55 op_sel_hi:[1,0]
	v_pk_mul_f16 v31, 0xbb7bbbf1, v55 op_sel_hi:[1,0]
	v_sub_f16_e32 v50, v28, v33
	v_pk_mul_f16 v51, 0xba95bb7b, v52 op_sel_hi:[1,0]
	v_sub_f16_e32 v60, v6, v24
	v_pk_fma_f16 v2, 0x3b15388b, v48, v29 op_sel_hi:[1,0,1]
	v_pk_fma_f16 v6, 0xb5ac2fb7, v48, v31 op_sel_hi:[1,0,1]
	v_pk_mul_f16 v36, 0x394eb3a8, v52 op_sel_hi:[1,0]
	v_add_f16_e32 v34, v21, v11
	v_sub_f16_e32 v53, v25, v26
	v_pk_add_f16 v2, v13, v2 op_sel_hi:[0,1]
	v_pk_fma_f16 v24, 0x388bb5ac, v30, v51 op_sel_hi:[1,0,1]
	v_pk_mul_f16 v56, 0xbbf1b3a8, v50 op_sel_hi:[1,0]
	v_pk_add_f16 v6, v13, v6 op_sel_hi:[0,1]
	v_pk_fma_f16 v25, 0xb9fdbbc4, v30, v36 op_sel_hi:[1,0,1]
	v_pk_mul_f16 v27, 0x37703b7b, v50 op_sel_hi:[1,0]
	v_add_f16_e32 v33, v20, v12
	v_pk_add_f16 v2, v2, v24
	v_pk_fma_f16 v24, 0x2fb7bbc4, v34, v56 op_sel_hi:[1,0,1]
	v_pk_mul_f16 v57, 0xbb7b394e, v49 op_sel_hi:[1,0]
	v_pk_add_f16 v6, v6, v25
	v_pk_fma_f16 v25, 0x3b15b5ac, v34, v27 op_sel_hi:[1,0,1]
	v_pk_mul_f16 v26, 0xbbf13770, v49 op_sel_hi:[1,0]
	v_add_f16_e32 v28, v19, v16
	v_pk_add_f16 v2, v2, v24
	v_pk_fma_f16 v24, 0xb5acb9fd, v33, v57 op_sel_hi:[1,0,1]
	v_pk_mul_f16 v58, 0xb94e3bf1, v53 op_sel_hi:[1,0]
	v_pk_add_f16 v6, v6, v25
	;; [unrolled: 7-line block ×3, first 2 shown]
	v_pk_fma_f16 v61, 0xbbc4388b, v28, v25 op_sel_hi:[1,0,1]
	v_pk_mul_f16 v24, 0x3a95b94e, v60 op_sel_hi:[1,0]
	v_pk_add_f16 v2, v2, v62
	v_pk_fma_f16 v62, 0xbbc43b15, v54, v59 op_sel_hi:[1,0,1]
	s_waitcnt lgkmcnt(0)
	v_pk_add_f16 v6, v6, v61
	v_pk_fma_f16 v61, 0x388bb9fd, v54, v24 op_sel_hi:[1,0,1]
	s_barrier
	v_pk_add_f16 v2, v2, v62
	buffer_gl0_inv
	v_pk_add_f16 v6, v6, v61
	s_and_saveexec_b32 s4, s1
	s_cbranch_execz .LBB0_18
; %bb.17:
	v_add_f16_e32 v23, v13, v23
	v_pk_mul_f16 v62, 0x3b15388b, v48 op_sel_hi:[1,0]
	v_perm_b32 v13, v13, v13, 0x5040100
	v_pk_mul_f16 v63, 0x388bb5ac, v30 op_sel_hi:[1,0]
	v_pack_b32_f16 v55, v55, v55
	v_add_f16_e32 v22, v23, v22
	v_pk_add_f16 v29, v62, v29 neg_lo:[0,1] neg_hi:[0,1]
	v_pack_b32_f16 v23, v30, v30
	v_pack_b32_f16 v64, v34, v34
	;; [unrolled: 1-line block ×3, first 2 shown]
	v_add_f16_e32 v21, v22, v21
	v_pk_mul_f16 v22, 0x2fb7bbc4, v34 op_sel_hi:[1,0]
	v_pk_add_f16 v29, v13, v29
	v_pack_b32_f16 v52, v52, v52
	v_pk_mul_f16 v66, 0xb5acb9fd, v33 op_sel_hi:[1,0]
	v_add_f16_e32 v20, v21, v20
	v_pk_mul_f16 v48, 0xb5ac2fb7, v48 op_sel_hi:[1,0]
	v_pack_b32_f16 v50, v50, v50
	v_pack_b32_f16 v21, v49, v49
	;; [unrolled: 1-line block ×3, first 2 shown]
	v_add_f16_e32 v19, v20, v19
	v_pk_add_f16 v31, v48, v31 neg_lo:[0,1] neg_hi:[0,1]
	v_pack_b32_f16 v53, v53, v53
	v_pk_mul_f16 v21, 0x3a9533a8, v21
	v_pack_b32_f16 v49, v28, v28
	v_add_f16_e32 v18, v19, v18
	v_pk_mul_f16 v19, 0xb9fdbbc4, v30 op_sel_hi:[1,0]
	v_pk_mul_f16 v30, 0x3b15b5ac, v34 op_sel_hi:[1,0]
	v_pk_add_f16 v34, v63, v51 neg_lo:[0,1] neg_hi:[0,1]
	v_pk_add_f16 v31, v13, v31
	v_add_f16_e32 v17, v18, v17
	v_pk_add_f16 v19, v19, v36 neg_lo:[0,1] neg_hi:[0,1]
	v_pk_mul_f16 v67, 0xb9fd2fb7, v28 op_sel_hi:[1,0]
	v_pk_add_f16 v29, v29, v34
	v_pack_b32_f16 v60, v60, v60
	v_add_f16_e32 v16, v16, v17
	v_pk_add_f16 v17, v22, v56 neg_lo:[0,1] neg_hi:[0,1]
	v_pk_add_f16 v22, v66, v57 neg_lo:[0,1] neg_hi:[0,1]
	v_pk_mul_f16 v33, 0x2fb73b15, v33 op_sel_hi:[1,0]
	v_pk_add_f16 v19, v31, v19
	v_add_f16_e32 v12, v12, v16
	v_pk_add_f16 v17, v29, v17
	v_pk_mul_f16 v29, 0x37703bf1, v52
	v_pack_b32_f16 v20, v54, v54
	v_pk_mul_f16 v68, 0xbbc43b15, v54 op_sel_hi:[1,0]
	v_add_f16_e32 v11, v11, v12
	v_pk_mul_f16 v12, 0xb3a8b94e, v55
	v_pk_add_f16 v17, v17, v22
	v_pk_mul_f16 v22, 0xb94eba95, v50
	v_pk_mul_f16 v18, 0xbbc4388b, v28 op_sel_hi:[1,0]
	v_add_f16_e32 v7, v7, v11
	v_pk_fma_f16 v11, 0xbbc4b9fd, v61, v12 neg_lo:[0,0,1] neg_hi:[0,0,1]
	v_pk_fma_f16 v12, 0xbbc4b9fd, v61, v12
	v_pk_add_f16 v51, v67, v58 neg_lo:[0,1] neg_hi:[0,1]
	v_pk_mul_f16 v28, 0x388bb9fd, v54 op_sel_hi:[1,0]
	v_add_f16_e32 v7, v1, v7
	v_pk_add_f16 v1, v13, v11
	v_pk_fma_f16 v11, 0x3b152fb7, v23, v29 neg_lo:[0,0,1] neg_hi:[0,0,1]
	v_pk_add_f16 v12, v13, v12
	v_pk_fma_f16 v13, 0x3b152fb7, v23, v29
	v_pk_add_f16 v23, v30, v27 neg_lo:[0,1] neg_hi:[0,1]
	v_pk_add_f16 v16, v68, v59 neg_lo:[0,1] neg_hi:[0,1]
	v_pk_add_f16 v1, v1, v11
	v_pk_fma_f16 v11, 0xb9fd388b, v64, v22 neg_lo:[0,0,1] neg_hi:[0,0,1]
	v_pk_add_f16 v12, v12, v13
	v_pk_fma_f16 v13, 0xb9fd388b, v64, v22
	v_pk_add_f16 v19, v19, v23
	v_pk_add_f16 v22, v33, v26 neg_lo:[0,1] neg_hi:[0,1]
	v_pk_add_f16 v1, v1, v11
	v_pk_fma_f16 v11, 0x388bbbc4, v65, v21 neg_lo:[0,0,1] neg_hi:[0,0,1]
	v_pk_add_f16 v12, v12, v13
	v_pk_fma_f16 v13, 0x388bbbc4, v65, v21
	v_pk_mul_f16 v21, 0xbb7b3770, v53
	v_pk_add_f16 v17, v17, v51
	v_pk_add_f16 v1, v1, v11
	;; [unrolled: 1-line block ×4, first 2 shown]
	v_pk_fma_f16 v12, 0xb5ac3b15, v49, v21
	v_pk_mul_f16 v13, 0x3bf1bb7b, v60
	v_pk_add_f16 v18, v18, v25 neg_lo:[0,1] neg_hi:[0,1]
	v_pk_fma_f16 v21, 0xb5ac3b15, v49, v21 neg_lo:[0,0,1] neg_hi:[0,0,1]
	v_pk_add_f16 v16, v17, v16
	v_pk_add_f16 v11, v11, v12
	v_pk_fma_f16 v12, 0x2fb7b5ac, v20, v13
	v_pk_fma_f16 v13, 0x2fb7b5ac, v20, v13 neg_lo:[0,0,1] neg_hi:[0,0,1]
	v_mul_u32_u24_e32 v20, 24, v0
	v_pk_add_f16 v18, v19, v18
	v_pk_add_f16 v19, v28, v24 neg_lo:[0,1] neg_hi:[0,1]
	v_pk_add_f16 v1, v1, v21
	v_pk_add_f16 v11, v11, v12
	v_add3_u32 v12, v47, v20, v3
	v_alignbit_b32 v16, v16, v16, 16
	v_pk_add_f16 v17, v18, v19
	v_pk_add_f16 v18, v1, v13
	v_alignbit_b32 v19, v11, v11, 16
	v_alignbit_b32 v1, v6, v6, 16
	ds_write_b16 v12, v7
	ds_write_b128 v12, v[16:19] offset:2
	ds_write_b64 v12, v[1:2] offset:18
.LBB0_18:
	s_or_b32 exec_lo, exec_lo, s4
	s_waitcnt lgkmcnt(0)
	s_barrier
	buffer_gl0_inv
	ds_read_u16 v1, v15
	ds_read_u16 v12, v14 offset:988
	ds_read_u16 v20, v14 offset:858
	;; [unrolled: 1-line block ×9, first 2 shown]
                                        ; implicit-def: $vgpr18
                                        ; implicit-def: $vgpr19
	s_and_saveexec_b32 s1, s0
	s_cbranch_execz .LBB0_20
; %bb.19:
	ds_read_u16 v2, v14 offset:546
	ds_read_u16 v6, v14 offset:260
	;; [unrolled: 1-line block ×3, first 2 shown]
	s_waitcnt lgkmcnt(2)
	ds_read_u16_d16_hi v2, v14 offset:832
	ds_read_u16 v18, v14 offset:1404
.LBB0_20:
	s_or_b32 exec_lo, exec_lo, s1
	v_and_b32_e32 v11, 0xff, v0
	v_add_nc_u16 v28, v0, 0x82
	v_mov_b32_e32 v27, 4
	v_mov_b32_e32 v50, 1
	v_lshrrev_b32_e32 v64, 16, v5
	v_mul_lo_u16 v11, 0x4f, v11
	v_and_b32_e32 v29, 0xff, v28
	s_waitcnt lgkmcnt(1)
	v_lshrrev_b32_e32 v65, 16, v2
	v_lshrrev_b16 v24, 10, v11
	v_add_nc_u16 v11, v0, 0x41
	v_mul_lo_u16 v29, 0x4f, v29
	v_mul_lo_u16 v25, v24, 13
	v_and_b32_e32 v26, 0xff, v11
	v_lshrrev_b16 v29, 10, v29
	v_and_b32_e32 v24, 0xffff, v24
	v_sub_nc_u16 v25, v0, v25
	v_mul_lo_u16 v26, 0x4f, v26
	v_mad_u32_u24 v24, 0x82, v24, 0
	v_lshlrev_b32_sdwa v30, v27, v25 dst_sel:DWORD dst_unused:UNUSED_PAD src0_sel:DWORD src1_sel:BYTE_0
	v_lshrrev_b16 v26, 10, v26
	v_lshlrev_b32_sdwa v25, v50, v25 dst_sel:DWORD dst_unused:UNUSED_PAD src0_sel:DWORD src1_sel:BYTE_0
	global_load_dwordx4 v[52:55], v30, s[8:9]
	v_mul_lo_u16 v30, v26, 13
	v_and_b32_e32 v26, 0xffff, v26
	v_sub_nc_u16 v30, v11, v30
	v_mul_lo_u16 v11, v29, 13
	v_mad_u32_u24 v26, 0x82, v26, 0
	v_lshlrev_b32_sdwa v29, v27, v30 dst_sel:DWORD dst_unused:UNUSED_PAD src0_sel:DWORD src1_sel:BYTE_0
	v_sub_nc_u16 v11, v28, v11
	v_add3_u32 v28, v24, v25, v3
	global_load_dwordx4 v[56:59], v29, s[8:9]
	v_lshlrev_b32_sdwa v27, v27, v11 dst_sel:DWORD dst_unused:UNUSED_PAD src0_sel:DWORD src1_sel:BYTE_0
	global_load_dwordx4 v[60:63], v27, s[8:9]
	v_lshlrev_b32_sdwa v27, v50, v30 dst_sel:DWORD dst_unused:UNUSED_PAD src0_sel:DWORD src1_sel:BYTE_0
	s_waitcnt vmcnt(0) lgkmcnt(0)
	s_barrier
	buffer_gl0_inv
	v_add3_u32 v27, v26, v27, v3
	v_mul_f16_sdwa v47, v23, v52 dst_sel:DWORD dst_unused:UNUSED_PAD src0_sel:DWORD src1_sel:WORD_1
	v_mul_f16_sdwa v24, v46, v52 dst_sel:DWORD dst_unused:UNUSED_PAD src0_sel:DWORD src1_sel:WORD_1
	;; [unrolled: 1-line block ×8, first 2 shown]
	v_fmac_f16_e32 v47, v46, v52
	v_fma_f16 v46, v23, v52, -v24
	v_fmac_f16_e32 v48, v44, v53
	v_fma_f16 v44, v21, v53, -v25
	;; [unrolled: 2-line block ×4, first 2 shown]
	v_mul_f16_sdwa v21, v17, v56 dst_sel:DWORD dst_unused:UNUSED_PAD src0_sel:DWORD src1_sel:WORD_1
	v_mul_f16_sdwa v23, v40, v56 dst_sel:DWORD dst_unused:UNUSED_PAD src0_sel:DWORD src1_sel:WORD_1
	;; [unrolled: 1-line block ×12, first 2 shown]
	v_fmac_f16_e32 v21, v40, v56
	v_fma_f16 v17, v17, v56, -v23
	v_fmac_f16_e32 v20, v38, v57
	v_fma_f16 v23, v13, v57, -v25
	v_fmac_f16_e32 v22, v37, v58
	v_fmac_f16_e32 v24, v39, v59
	;; [unrolled: 1-line block ×4, first 2 shown]
	v_fma_f16 v13, v18, v63, -v54
	v_add_f16_e32 v18, v48, v49
	v_sub_f16_e32 v38, v47, v48
	v_sub_f16_e32 v39, v51, v49
	v_add_f16_e32 v40, v47, v51
	v_sub_f16_e32 v41, v48, v47
	v_sub_f16_e32 v42, v49, v51
	v_fma_f16 v25, v12, v58, -v34
	v_fma_f16 v34, v16, v59, -v43
	;; [unrolled: 1-line block ×3, first 2 shown]
	v_add_f16_e32 v16, v32, v47
	v_sub_f16_e32 v19, v46, v36
	v_sub_f16_e32 v37, v44, v26
	v_fma_f16 v18, -0.5, v18, v32
	v_add_f16_e32 v38, v38, v39
	v_fmac_f16_e32 v32, -0.5, v40
	v_add_f16_e32 v39, v41, v42
	v_add_f16_e32 v40, v35, v21
	;; [unrolled: 1-line block ×4, first 2 shown]
	v_mul_f16_sdwa v29, v2, v60 dst_sel:DWORD dst_unused:UNUSED_PAD src0_sel:DWORD src1_sel:WORD_1
	v_mul_f16_sdwa v45, v5, v60 dst_sel:DWORD dst_unused:UNUSED_PAD src0_sel:DWORD src1_sel:WORD_1
	;; [unrolled: 1-line block ×3, first 2 shown]
	v_add_f16_e32 v16, v16, v48
	v_sub_f16_e32 v42, v17, v34
	v_sub_f16_e32 v43, v23, v25
	v_fmamk_f16 v56, v19, 0xbb9c, v18
	v_fmac_f16_e32 v18, 0x3b9c, v19
	v_fmamk_f16 v57, v37, 0x3b9c, v32
	v_fmac_f16_e32 v32, 0xbb9c, v37
	v_add_f16_e32 v40, v40, v20
	v_fma_f16 v41, -0.5, v41, v35
	v_fmac_f16_e32 v35, -0.5, v53
	v_mul_f16_sdwa v30, v65, v61 dst_sel:DWORD dst_unused:UNUSED_PAD src0_sel:DWORD src1_sel:WORD_1
	v_fmac_f16_e32 v29, v5, v60
	v_fma_f16 v2, v2, v60, -v45
	v_fma_f16 v5, v65, v61, -v52
	v_sub_f16_e32 v45, v21, v20
	v_sub_f16_e32 v52, v24, v22
	;; [unrolled: 1-line block ×4, first 2 shown]
	v_add_f16_e32 v16, v16, v49
	v_fmac_f16_e32 v56, 0xb8b4, v37
	v_fmac_f16_e32 v18, 0x38b4, v37
	;; [unrolled: 1-line block ×4, first 2 shown]
	v_add_f16_e32 v19, v40, v22
	v_fmamk_f16 v37, v42, 0xbb9c, v41
	v_fmac_f16_e32 v41, 0x3b9c, v42
	v_fmamk_f16 v40, v43, 0x3b9c, v35
	v_fmac_f16_e32 v35, 0xbb9c, v43
	v_fmac_f16_e32 v30, v64, v61
	v_add_f16_e32 v45, v45, v52
	v_add_f16_e32 v52, v54, v55
	;; [unrolled: 1-line block ×3, first 2 shown]
	v_fmac_f16_e32 v56, 0x34f2, v38
	v_fmac_f16_e32 v37, 0xb8b4, v43
	;; [unrolled: 1-line block ×8, first 2 shown]
	v_add_f16_e32 v19, v19, v24
	ds_write_b16 v28, v16
	v_fmac_f16_e32 v37, 0x34f2, v45
	v_fmac_f16_e32 v41, 0x34f2, v45
	;; [unrolled: 1-line block ×4, first 2 shown]
	ds_write_b16 v28, v56 offset:26
	ds_write_b16 v28, v57 offset:52
	;; [unrolled: 1-line block ×4, first 2 shown]
	ds_write_b16 v27, v19
	ds_write_b16 v27, v37 offset:26
	ds_write_b16 v27, v40 offset:52
	;; [unrolled: 1-line block ×4, first 2 shown]
	s_and_saveexec_b32 s1, s0
	s_cbranch_execz .LBB0_22
; %bb.21:
	v_add_f16_e32 v16, v29, v33
	v_add_f16_e32 v35, v30, v31
	v_sub_f16_e32 v18, v30, v29
	v_sub_f16_e32 v19, v31, v33
	v_add_f16_e32 v39, v4, v29
	v_fma_f16 v16, -0.5, v16, v4
	v_sub_f16_e32 v37, v2, v13
	v_fma_f16 v4, -0.5, v35, v4
	v_sub_f16_e32 v32, v5, v12
	v_sub_f16_e32 v38, v29, v30
	;; [unrolled: 1-line block ×3, first 2 shown]
	v_add_f16_e32 v18, v18, v19
	v_add_f16_e32 v19, v39, v30
	v_fmamk_f16 v39, v37, 0x3b9c, v4
	v_fmac_f16_e32 v4, 0xbb9c, v37
	v_fmamk_f16 v35, v32, 0xbb9c, v16
	v_fmac_f16_e32 v16, 0x3b9c, v32
	v_add_f16_e32 v38, v38, v40
	v_add_f16_e32 v19, v19, v31
	v_lshlrev_b32_sdwa v40, v50, v11 dst_sel:DWORD dst_unused:UNUSED_PAD src0_sel:DWORD src1_sel:BYTE_0
	v_fmac_f16_e32 v4, 0xb8b4, v32
	v_fmac_f16_e32 v16, 0xb8b4, v37
	;; [unrolled: 1-line block ×4, first 2 shown]
	v_add_f16_e32 v19, v19, v33
	v_add3_u32 v32, 0, v40, v3
	v_fmac_f16_e32 v4, 0x34f2, v38
	v_fmac_f16_e32 v16, 0x34f2, v18
	;; [unrolled: 1-line block ×4, first 2 shown]
	ds_write_b16 v32, v19 offset:1300
	ds_write_b16 v32, v4 offset:1326
	;; [unrolled: 1-line block ×5, first 2 shown]
.LBB0_22:
	s_or_b32 exec_lo, exec_lo, s1
	v_add_f16_e32 v4, v44, v26
	v_add_f16_e32 v16, v1, v46
	v_sub_f16_e32 v18, v47, v51
	v_add_f16_e32 v35, v46, v36
	v_sub_f16_e32 v19, v48, v49
	v_fma_f16 v4, -0.5, v4, v1
	v_add_f16_e32 v16, v16, v44
	v_sub_f16_e32 v32, v46, v44
	v_sub_f16_e32 v37, v36, v26
	;; [unrolled: 1-line block ×3, first 2 shown]
	v_fmamk_f16 v39, v18, 0x3b9c, v4
	v_fmac_f16_e32 v1, -0.5, v35
	v_add_f16_e32 v16, v16, v26
	v_fmac_f16_e32 v4, 0xbb9c, v18
	v_sub_f16_e32 v26, v26, v36
	v_add_f16_e32 v32, v32, v37
	v_fmac_f16_e32 v39, 0x38b4, v19
	v_fmamk_f16 v35, v19, 0xbb9c, v1
	v_add_f16_e32 v36, v16, v36
	v_fmac_f16_e32 v4, 0xb8b4, v19
	v_add_f16_e32 v16, v38, v26
	v_fmac_f16_e32 v1, 0x3b9c, v19
	v_add_f16_e32 v19, v7, v17
	v_add_f16_e32 v26, v23, v25
	v_fmac_f16_e32 v39, 0x34f2, v32
	v_fmac_f16_e32 v35, 0x38b4, v18
	;; [unrolled: 1-line block ×4, first 2 shown]
	v_add_f16_e32 v18, v19, v23
	v_fma_f16 v32, -0.5, v26, v7
	v_add_f16_e32 v19, v17, v34
	v_sub_f16_e32 v37, v21, v24
	v_fmac_f16_e32 v35, 0x34f2, v16
	v_fmac_f16_e32 v1, 0x34f2, v16
	v_add_f16_e32 v38, v18, v25
	v_sub_f16_e32 v16, v20, v22
	v_fmac_f16_e32 v7, -0.5, v19
	v_fmamk_f16 v40, v37, 0x3b9c, v32
	v_sub_f16_e32 v18, v17, v23
	v_sub_f16_e32 v19, v34, v25
	v_fmac_f16_e32 v32, 0xbb9c, v37
	v_sub_f16_e32 v17, v23, v17
	v_sub_f16_e32 v20, v25, v34
	v_fmamk_f16 v41, v16, 0xbb9c, v7
	v_fmac_f16_e32 v40, 0x38b4, v16
	v_add_f16_e32 v42, v18, v19
	v_fmac_f16_e32 v32, 0xb8b4, v16
	v_add_f16_e32 v43, v17, v20
	v_fmac_f16_e32 v7, 0x3b9c, v16
	s_waitcnt lgkmcnt(0)
	s_barrier
	buffer_gl0_inv
	ds_read_u16 v16, v15
	ds_read_u16 v23, v14 offset:130
	ds_read_u16 v22, v14 offset:260
	;; [unrolled: 1-line block ×10, first 2 shown]
	v_fmac_f16_e32 v41, 0x38b4, v37
	v_fmac_f16_e32 v7, 0xb8b4, v37
	v_add_f16_e32 v34, v38, v34
	v_fmac_f16_e32 v40, 0x34f2, v42
	v_fmac_f16_e32 v32, 0x34f2, v42
	;; [unrolled: 1-line block ×4, first 2 shown]
	s_waitcnt lgkmcnt(0)
	s_barrier
	buffer_gl0_inv
	ds_write_b16 v28, v36
	ds_write_b16 v28, v39 offset:26
	ds_write_b16 v28, v35 offset:52
	ds_write_b16 v28, v1 offset:78
	ds_write_b16 v28, v4 offset:104
	ds_write_b16 v27, v34
	ds_write_b16 v27, v40 offset:26
	ds_write_b16 v27, v41 offset:52
	;; [unrolled: 1-line block ×4, first 2 shown]
	s_and_saveexec_b32 s1, s0
	s_cbranch_execz .LBB0_24
; %bb.23:
	v_add_f16_e32 v4, v5, v12
	v_add_f16_e32 v28, v2, v13
	;; [unrolled: 1-line block ×3, first 2 shown]
	v_sub_f16_e32 v7, v29, v33
	v_sub_f16_e32 v27, v30, v31
	v_fma_f16 v4, -0.5, v4, v6
	v_sub_f16_e32 v29, v2, v5
	v_sub_f16_e32 v30, v13, v12
	v_fmac_f16_e32 v6, -0.5, v28
	v_add_f16_e32 v1, v1, v5
	v_mov_b32_e32 v31, 1
	v_fmamk_f16 v28, v7, 0x3b9c, v4
	v_add_f16_e32 v29, v29, v30
	v_fmamk_f16 v30, v27, 0xbb9c, v6
	v_sub_f16_e32 v2, v5, v2
	v_sub_f16_e32 v5, v12, v13
	v_fmac_f16_e32 v6, 0x3b9c, v27
	v_fmac_f16_e32 v4, 0xbb9c, v7
	v_add_f16_e32 v1, v1, v12
	v_lshlrev_b32_sdwa v11, v31, v11 dst_sel:DWORD dst_unused:UNUSED_PAD src0_sel:DWORD src1_sel:BYTE_0
	v_fmac_f16_e32 v28, 0x38b4, v27
	v_fmac_f16_e32 v30, 0x38b4, v7
	v_add_f16_e32 v2, v2, v5
	v_fmac_f16_e32 v6, 0xb8b4, v7
	v_fmac_f16_e32 v4, 0xb8b4, v27
	v_add_f16_e32 v1, v1, v13
	v_add3_u32 v3, 0, v11, v3
	v_fmac_f16_e32 v28, 0x34f2, v29
	v_fmac_f16_e32 v30, 0x34f2, v2
	;; [unrolled: 1-line block ×4, first 2 shown]
	ds_write_b16 v3, v1 offset:1300
	ds_write_b16 v3, v28 offset:1326
	;; [unrolled: 1-line block ×5, first 2 shown]
.LBB0_24:
	s_or_b32 exec_lo, exec_lo, s1
	s_waitcnt lgkmcnt(0)
	s_barrier
	buffer_gl0_inv
	s_and_saveexec_b32 s0, vcc_lo
	s_cbranch_execz .LBB0_26
; %bb.25:
	v_mul_u32_u24_e32 v0, 10, v0
	v_mov_b32_e32 v11, 0
	v_lshlrev_b64 v[8:9], 2, v[8:9]
	v_lshlrev_b32_e32 v4, 2, v0
	v_lshlrev_b64 v[27:28], 2, v[10:11]
	s_clause 0x2
	global_load_dwordx4 v[0:3], v4, s[8:9] offset:208
	global_load_dwordx2 v[12:13], v4, s[8:9] offset:240
	global_load_dwordx4 v[4:7], v4, s[8:9] offset:224
	v_add_co_u32 v8, vcc_lo, s2, v8
	v_add_co_ci_u32_e32 v9, vcc_lo, s3, v9, vcc_lo
	ds_read_u16 v29, v14 offset:390
	ds_read_u16 v30, v14 offset:520
	;; [unrolled: 1-line block ×5, first 2 shown]
	v_add_co_u32 v8, vcc_lo, v8, v27
	ds_read_u16 v11, v14 offset:260
	ds_read_u16 v34, v14 offset:130
	ds_read_u16 v10, v15
	v_add_co_ci_u32_e32 v9, vcc_lo, v9, v28, vcc_lo
	ds_read_u16 v27, v14 offset:1300
	ds_read_u16 v28, v14 offset:1170
	;; [unrolled: 1-line block ×3, first 2 shown]
	v_add_co_u32 v14, vcc_lo, 0x800, v8
	v_add_co_ci_u32_e32 v15, vcc_lo, 0, v9, vcc_lo
	s_waitcnt vmcnt(2)
	v_lshrrev_b32_e32 v36, 16, v0
	s_waitcnt vmcnt(1)
	v_lshrrev_b32_e32 v42, 16, v13
	v_lshrrev_b32_e32 v37, 16, v1
	v_mul_f16_e32 v40, v23, v0
	v_mul_f16_e32 v43, v26, v13
	s_waitcnt vmcnt(0)
	v_lshrrev_b32_e32 v49, 16, v6
	v_mul_f16_e32 v26, v26, v42
	v_mul_f16_e32 v23, v23, v36
	v_lshrrev_b32_e32 v38, 16, v2
	v_lshrrev_b32_e32 v39, 16, v3
	;; [unrolled: 1-line block ×3, first 2 shown]
	v_mul_f16_e32 v44, v22, v1
	v_mul_f16_e32 v45, v25, v12
	v_mul_f16_e32 v46, v20, v2
	v_lshrrev_b32_e32 v47, 16, v4
	v_lshrrev_b32_e32 v48, 16, v5
	;; [unrolled: 1-line block ×3, first 2 shown]
	v_mul_f16_e32 v51, v24, v7
	v_mul_f16_e32 v52, v19, v3
	;; [unrolled: 1-line block ×5, first 2 shown]
	s_waitcnt lgkmcnt(4)
	v_fmac_f16_e32 v40, v34, v36
	v_mul_f16_e32 v22, v22, v37
	v_mul_f16_e32 v21, v21, v49
	s_waitcnt lgkmcnt(2)
	v_fma_f16 v13, v27, v13, -v26
	v_fma_f16 v0, v34, v0, -v23
	v_fmac_f16_e32 v43, v27, v42
	v_fmac_f16_e32 v44, v11, v37
	s_waitcnt lgkmcnt(1)
	v_fmac_f16_e32 v45, v28, v41
	v_mul_f16_e32 v25, v25, v41
	v_fmac_f16_e32 v46, v29, v38
	s_waitcnt lgkmcnt(0)
	v_fmac_f16_e32 v51, v35, v50
	v_mul_f16_e32 v24, v24, v50
	v_mul_f16_e32 v20, v20, v38
	v_fmac_f16_e32 v52, v30, v39
	v_fmac_f16_e32 v53, v32, v49
	v_mul_f16_e32 v19, v19, v39
	v_fmac_f16_e32 v54, v31, v47
	v_fmac_f16_e32 v55, v33, v48
	v_mul_f16_e32 v18, v18, v48
	v_mul_f16_e32 v17, v17, v47
	v_fma_f16 v1, v11, v1, -v22
	v_fma_f16 v6, v32, v6, -v21
	v_add_f16_e32 v21, v16, v40
	v_add_f16_e32 v27, v0, v13
	v_sub_f16_e32 v37, v0, v13
	v_add_f16_e32 v0, v0, v10
	v_sub_f16_e32 v36, v40, v43
	v_sub_f16_e32 v23, v44, v45
	v_fma_f16 v12, v28, v12, -v25
	v_sub_f16_e32 v11, v46, v51
	v_fma_f16 v7, v35, v7, -v24
	v_fma_f16 v2, v29, v2, -v20
	v_sub_f16_e32 v20, v52, v53
	v_fma_f16 v3, v30, v3, -v19
	v_sub_f16_e32 v19, v54, v55
	v_fma_f16 v5, v33, v5, -v18
	v_fma_f16 v4, v31, v4, -v17
	v_add_f16_e32 v21, v21, v44
	v_add_f16_e32 v0, v0, v1
	v_mul_f16_e32 v26, 0xb482, v36
	v_mul_f16_e32 v28, 0x3853, v23
	v_add_f16_e32 v29, v1, v12
	v_mul_f16_e32 v30, 0xba0c, v11
	v_add_f16_e32 v31, v2, v7
	;; [unrolled: 2-line block ×4, first 2 shown]
	v_sub_f16_e32 v38, v1, v12
	v_add_f16_e32 v1, v21, v46
	v_add_f16_e32 v0, v0, v2
	;; [unrolled: 1-line block ×4, first 2 shown]
	v_sub_f16_e32 v39, v2, v7
	v_sub_f16_e32 v40, v3, v6
	;; [unrolled: 1-line block ×3, first 2 shown]
	v_fmamk_f16 v42, v27, 0xbbad, v26
	v_fmamk_f16 v44, v29, 0x3abb, v28
	;; [unrolled: 1-line block ×5, first 2 shown]
	v_mul_f16_e32 v50, 0xb482, v37
	v_fma_f16 v26, v27, 0xbbad, -v26
	v_fma_f16 v28, v29, 0x3abb, -v28
	;; [unrolled: 1-line block ×5, first 2 shown]
	v_mul_f16_e32 v57, 0xb93d, v27
	v_mul_f16_e32 v58, 0xb08e, v29
	;; [unrolled: 1-line block ×24, first 2 shown]
	v_add_f16_e32 v1, v1, v52
	v_add_f16_e32 v0, v0, v3
	;; [unrolled: 1-line block ×5, first 2 shown]
	v_mul_f16_e32 v56, 0x3853, v38
	v_mul_f16_e32 v63, 0x3beb, v38
	;; [unrolled: 1-line block ×20, first 2 shown]
	v_fma_f16 v88, v17, 0xbbad, -v50
	v_fmamk_f16 v90, v36, 0x3a0c, v57
	v_fmamk_f16 v91, v23, 0xbbeb, v58
	;; [unrolled: 1-line block ×16, first 2 shown]
	v_fmac_f16_e32 v57, 0xba0c, v36
	v_fmac_f16_e32 v64, 0xbbeb, v36
	v_fmac_f16_e32 v71, 0xbb47, v36
	v_fmac_f16_e32 v27, 0xb853, v36
	v_fmamk_f16 v36, v23, 0x3b47, v29
	v_fmac_f16_e32 v58, 0x3beb, v23
	v_fmac_f16_e32 v65, 0x3482, v23
	v_fmac_f16_e32 v72, 0xba0c, v23
	v_fmac_f16_e32 v29, 0xbb47, v23
	v_fmamk_f16 v23, v11, 0x3beb, v31
	;; [unrolled: 5-line block ×5, first 2 shown]
	v_add_f16_e32 v42, v10, v42
	v_add_f16_e32 v26, v10, v26
	v_fmac_f16_e32 v50, 0xbbad, v17
	v_fmamk_f16 v95, v17, 0xb93d, v62
	v_fmamk_f16 v102, v17, 0xb08e, v69
	;; [unrolled: 1-line block ×3, first 2 shown]
	v_fma_f16 v62, v17, 0xb93d, -v62
	v_fma_f16 v69, v17, 0xb08e, -v69
	;; [unrolled: 1-line block ×3, first 2 shown]
	v_add_f16_e32 v1, v1, v54
	v_add_f16_e32 v0, v0, v4
	v_fma_f16 v89, v18, 0x3abb, -v56
	v_fmac_f16_e32 v56, 0x3abb, v18
	v_fmamk_f16 v96, v18, 0xb08e, v63
	v_fmamk_f16 v103, v18, 0xbbad, v70
	v_fma_f16 v17, v17, 0x3abb, -v37
	v_fmamk_f16 v37, v18, 0xb93d, v77
	v_fma_f16 v63, v18, 0xb08e, -v63
	v_fma_f16 v70, v18, 0xbbad, -v70
	;; [unrolled: 1-line block ×3, first 2 shown]
	v_fmamk_f16 v111, v18, 0x36a6, v38
	v_fma_f16 v18, v18, 0x36a6, -v38
	v_fma_f16 v2, v22, 0xb93d, -v21
	v_fmac_f16_e32 v21, 0xb93d, v22
	v_fmamk_f16 v38, v22, 0x3abb, v46
	v_fma_f16 v46, v22, 0x3abb, -v46
	v_fmamk_f16 v112, v22, 0x36a6, v78
	v_fma_f16 v78, v22, 0x36a6, -v78
	v_fmamk_f16 v113, v22, 0xbbad, v79
	v_fma_f16 v79, v22, 0xbbad, -v79
	v_fmamk_f16 v114, v22, 0xb08e, v39
	v_fma_f16 v22, v22, 0xb08e, -v39
	v_fma_f16 v39, v24, 0x36a6, -v80
	v_fmac_f16_e32 v80, 0x36a6, v24
	v_fmamk_f16 v52, v24, 0xbbad, v81
	v_fma_f16 v81, v24, 0xbbad, -v81
	v_fmamk_f16 v115, v24, 0x3abb, v82
	v_fma_f16 v82, v24, 0x3abb, -v82
	v_fmamk_f16 v116, v24, 0xb08e, v83
	v_fma_f16 v83, v24, 0xb08e, -v83
	;; [unrolled: 10-line block ×3, first 2 shown]
	v_fmamk_f16 v121, v25, 0xbbad, v41
	v_fma_f16 v25, v25, 0xbbad, -v41
	v_add_f16_e32 v41, v42, v44
	v_add_f16_e32 v26, v26, v28
	v_add_f16_e32 v3, v10, v90
	v_add_f16_e32 v28, v10, v97
	v_add_f16_e32 v42, v10, v104
	v_add_f16_e32 v44, v10, v110
	v_add_f16_e32 v54, v10, v57
	v_add_f16_e32 v57, v10, v64
	v_add_f16_e32 v64, v10, v71
	v_add_f16_e32 v10, v10, v27
	v_add_f16_e32 v27, v16, v88
	v_add_f16_e32 v19, v16, v19
	v_add_f16_e32 v50, v16, v50
	v_add_f16_e32 v71, v16, v95
	v_add_f16_e32 v88, v16, v102
	v_add_f16_e32 v90, v16, v109
	v_add_f16_e32 v62, v16, v62
	v_add_f16_e32 v69, v16, v69
	v_add_f16_e32 v76, v16, v76
	v_add_f16_e32 v1, v1, v55
	v_add_f16_e32 v0, v0, v5
	v_add_f16_e32 v16, v16, v17
	v_add_f16_e32 v27, v27, v89
	v_add_f16_e32 v36, v44, v36
	v_add_f16_e32 v19, v19, v111
	v_add_f16_e32 v17, v41, v47
	v_add_f16_e32 v26, v26, v30
	v_add_f16_e32 v30, v50, v56
	v_add_f16_e32 v41, v71, v96
	v_add_f16_e32 v28, v28, v98
	v_add_f16_e32 v47, v88, v103
	v_add_f16_e32 v42, v42, v105
	v_add_f16_e32 v37, v90, v37
	v_add_f16_e32 v4, v54, v58
	v_add_f16_e32 v44, v62, v63
	v_add_f16_e32 v50, v57, v65
	v_add_f16_e32 v54, v69, v70
	v_add_f16_e32 v3, v3, v91
	v_add_f16_e32 v55, v64, v72
	v_add_f16_e32 v56, v76, v77
	v_add_f16_e32 v1, v53, v1
	v_add_f16_e32 v0, v6, v0
	v_add_f16_e32 v10, v10, v29
	v_add_f16_e32 v16, v16, v18
	v_add_f16_e32 v2, v27, v2
	v_add_f16_e32 v23, v36, v23
	v_add_f16_e32 v19, v19, v114
	v_add_f16_e32 v18, v26, v32
	v_add_f16_e32 v21, v30, v21
	v_add_f16_e32 v26, v41, v38
	v_add_f16_e32 v27, v28, v99
	v_add_f16_e32 v28, v47, v112
	v_add_f16_e32 v29, v42, v106
	v_add_f16_e32 v30, v37, v113
	v_add_f16_e32 v4, v4, v59
	v_add_f16_e32 v5, v44, v46
	v_add_f16_e32 v32, v50, v66
	v_add_f16_e32 v36, v54, v78
	v_add_f16_e32 v3, v3, v92
	v_add_f16_e32 v37, v55, v73
	v_add_f16_e32 v38, v56, v79
	v_add_f16_e32 v1, v51, v1
	v_add_f16_e32 v0, v7, v0
	v_add_f16_e32 v17, v17, v48
	v_add_f16_e32 v10, v10, v31
	v_add_f16_e32 v16, v16, v22
	v_add_f16_e32 v2, v2, v39
	v_add_f16_e32 v11, v23, v11
	v_add_f16_e32 v19, v19, v117
	v_add_f16_e32 v22, v26, v52
	v_add_f16_e32 v26, v27, v100
	v_add_f16_e32 v27, v28, v115
	v_add_f16_e32 v28, v29, v107
	v_add_f16_e32 v29, v30, v116
	v_add_f16_e32 v4, v4, v60
	v_add_f16_e32 v5, v5, v81
	v_add_f16_e32 v6, v32, v67
	v_add_f16_e32 v23, v36, v82
	v_add_f16_e32 v3, v3, v93
	v_add_f16_e32 v30, v37, v74
	v_add_f16_e32 v31, v38, v83
	v_add_f16_e32 v21, v21, v80
	v_add_f16_e32 v1, v45, v1
	v_add_f16_e32 v0, v12, v0
	v_add_f16_e32 v17, v17, v49
	v_add_f16_e32 v10, v10, v33
	v_add_f16_e32 v16, v16, v24
	v_add_f16_e32 v2, v2, v40
	v_add_f16_e32 v11, v11, v20
	v_add_f16_e32 v19, v19, v121
	v_add_f16_e32 v24, v26, v101
	v_add_f16_e32 v26, v27, v119
	v_add_f16_e32 v27, v28, v108
	v_add_f16_e32 v28, v29, v120
	v_add_f16_e32 v4, v4, v61
	v_add_f16_e32 v5, v5, v85
	v_add_f16_e32 v6, v6, v68
	v_add_f16_e32 v7, v23, v86
	v_add_f16_e32 v3, v3, v94
	v_add_f16_e32 v22, v22, v118
	v_add_f16_e32 v20, v30, v75
	v_add_f16_e32 v23, v31, v87
	v_add_f16_e32 v18, v18, v34
	v_add_f16_e32 v21, v21, v84
	v_add_f16_e32 v1, v43, v1
	v_add_f16_e32 v0, v13, v0
	v_add_f16_e32 v10, v10, v35
	v_add_f16_e32 v16, v16, v25
	v_pack_b32_f16 v11, v19, v11
	v_pack_b32_f16 v2, v2, v17
	;; [unrolled: 1-line block ×11, first 2 shown]
	global_store_dword v[8:9], v11, off offset:260
	global_store_dword v[8:9], v12, off offset:520
	;; [unrolled: 1-line block ×9, first 2 shown]
	global_store_dword v[8:9], v0, off
	global_store_dword v[14:15], v7, off offset:552
.LBB0_26:
	s_endpgm
	.section	.rodata,"a",@progbits
	.p2align	6, 0x0
	.amdhsa_kernel fft_rtc_back_len715_factors_13_5_11_wgs_195_tpt_65_halfLds_half_ip_CI_unitstride_sbrr_dirReg
		.amdhsa_group_segment_fixed_size 0
		.amdhsa_private_segment_fixed_size 0
		.amdhsa_kernarg_size 88
		.amdhsa_user_sgpr_count 6
		.amdhsa_user_sgpr_private_segment_buffer 1
		.amdhsa_user_sgpr_dispatch_ptr 0
		.amdhsa_user_sgpr_queue_ptr 0
		.amdhsa_user_sgpr_kernarg_segment_ptr 1
		.amdhsa_user_sgpr_dispatch_id 0
		.amdhsa_user_sgpr_flat_scratch_init 0
		.amdhsa_user_sgpr_private_segment_size 0
		.amdhsa_wavefront_size32 1
		.amdhsa_uses_dynamic_stack 0
		.amdhsa_system_sgpr_private_segment_wavefront_offset 0
		.amdhsa_system_sgpr_workgroup_id_x 1
		.amdhsa_system_sgpr_workgroup_id_y 0
		.amdhsa_system_sgpr_workgroup_id_z 0
		.amdhsa_system_sgpr_workgroup_info 0
		.amdhsa_system_vgpr_workitem_id 0
		.amdhsa_next_free_vgpr 122
		.amdhsa_next_free_sgpr 21
		.amdhsa_reserve_vcc 1
		.amdhsa_reserve_flat_scratch 0
		.amdhsa_float_round_mode_32 0
		.amdhsa_float_round_mode_16_64 0
		.amdhsa_float_denorm_mode_32 3
		.amdhsa_float_denorm_mode_16_64 3
		.amdhsa_dx10_clamp 1
		.amdhsa_ieee_mode 1
		.amdhsa_fp16_overflow 0
		.amdhsa_workgroup_processor_mode 1
		.amdhsa_memory_ordered 1
		.amdhsa_forward_progress 0
		.amdhsa_shared_vgpr_count 0
		.amdhsa_exception_fp_ieee_invalid_op 0
		.amdhsa_exception_fp_denorm_src 0
		.amdhsa_exception_fp_ieee_div_zero 0
		.amdhsa_exception_fp_ieee_overflow 0
		.amdhsa_exception_fp_ieee_underflow 0
		.amdhsa_exception_fp_ieee_inexact 0
		.amdhsa_exception_int_div_zero 0
	.end_amdhsa_kernel
	.text
.Lfunc_end0:
	.size	fft_rtc_back_len715_factors_13_5_11_wgs_195_tpt_65_halfLds_half_ip_CI_unitstride_sbrr_dirReg, .Lfunc_end0-fft_rtc_back_len715_factors_13_5_11_wgs_195_tpt_65_halfLds_half_ip_CI_unitstride_sbrr_dirReg
                                        ; -- End function
	.section	.AMDGPU.csdata,"",@progbits
; Kernel info:
; codeLenInByte = 9652
; NumSgprs: 23
; NumVgprs: 122
; ScratchSize: 0
; MemoryBound: 0
; FloatMode: 240
; IeeeMode: 1
; LDSByteSize: 0 bytes/workgroup (compile time only)
; SGPRBlocks: 2
; VGPRBlocks: 15
; NumSGPRsForWavesPerEU: 23
; NumVGPRsForWavesPerEU: 122
; Occupancy: 8
; WaveLimiterHint : 1
; COMPUTE_PGM_RSRC2:SCRATCH_EN: 0
; COMPUTE_PGM_RSRC2:USER_SGPR: 6
; COMPUTE_PGM_RSRC2:TRAP_HANDLER: 0
; COMPUTE_PGM_RSRC2:TGID_X_EN: 1
; COMPUTE_PGM_RSRC2:TGID_Y_EN: 0
; COMPUTE_PGM_RSRC2:TGID_Z_EN: 0
; COMPUTE_PGM_RSRC2:TIDIG_COMP_CNT: 0
	.text
	.p2alignl 6, 3214868480
	.fill 48, 4, 3214868480
	.type	__hip_cuid_9f104672c241174,@object ; @__hip_cuid_9f104672c241174
	.section	.bss,"aw",@nobits
	.globl	__hip_cuid_9f104672c241174
__hip_cuid_9f104672c241174:
	.byte	0                               ; 0x0
	.size	__hip_cuid_9f104672c241174, 1

	.ident	"AMD clang version 19.0.0git (https://github.com/RadeonOpenCompute/llvm-project roc-6.4.0 25133 c7fe45cf4b819c5991fe208aaa96edf142730f1d)"
	.section	".note.GNU-stack","",@progbits
	.addrsig
	.addrsig_sym __hip_cuid_9f104672c241174
	.amdgpu_metadata
---
amdhsa.kernels:
  - .args:
      - .actual_access:  read_only
        .address_space:  global
        .offset:         0
        .size:           8
        .value_kind:     global_buffer
      - .offset:         8
        .size:           8
        .value_kind:     by_value
      - .actual_access:  read_only
        .address_space:  global
        .offset:         16
        .size:           8
        .value_kind:     global_buffer
      - .actual_access:  read_only
        .address_space:  global
        .offset:         24
        .size:           8
        .value_kind:     global_buffer
      - .offset:         32
        .size:           8
        .value_kind:     by_value
      - .actual_access:  read_only
        .address_space:  global
        .offset:         40
        .size:           8
        .value_kind:     global_buffer
      - .actual_access:  read_only
        .address_space:  global
        .offset:         48
        .size:           8
        .value_kind:     global_buffer
      - .offset:         56
        .size:           4
        .value_kind:     by_value
      - .actual_access:  read_only
        .address_space:  global
        .offset:         64
        .size:           8
        .value_kind:     global_buffer
      - .actual_access:  read_only
        .address_space:  global
        .offset:         72
        .size:           8
        .value_kind:     global_buffer
      - .address_space:  global
        .offset:         80
        .size:           8
        .value_kind:     global_buffer
    .group_segment_fixed_size: 0
    .kernarg_segment_align: 8
    .kernarg_segment_size: 88
    .language:       OpenCL C
    .language_version:
      - 2
      - 0
    .max_flat_workgroup_size: 195
    .name:           fft_rtc_back_len715_factors_13_5_11_wgs_195_tpt_65_halfLds_half_ip_CI_unitstride_sbrr_dirReg
    .private_segment_fixed_size: 0
    .sgpr_count:     23
    .sgpr_spill_count: 0
    .symbol:         fft_rtc_back_len715_factors_13_5_11_wgs_195_tpt_65_halfLds_half_ip_CI_unitstride_sbrr_dirReg.kd
    .uniform_work_group_size: 1
    .uses_dynamic_stack: false
    .vgpr_count:     122
    .vgpr_spill_count: 0
    .wavefront_size: 32
    .workgroup_processor_mode: 1
amdhsa.target:   amdgcn-amd-amdhsa--gfx1030
amdhsa.version:
  - 1
  - 2
...

	.end_amdgpu_metadata
